;; amdgpu-corpus repo=FlagOpen/FlagGems kind=triton arch=gfx950 opt=O3 lang=triton
	.amdgcn_target "amdgcn-amd-amdhsa--gfx950"
	.amdhsa_code_object_version 5
	.text
	.globl	embedding_kernel                ; -- Begin function embedding_kernel
	.p2align	8
	.type	embedding_kernel,@function
embedding_kernel:                       ; @embedding_kernel
.Lfunc_begin0:
	.cfi_sections .debug_frame
	.cfi_startproc
; %bb.1:
	.file	1 "/root/src/amdgpu-assembly/repos/FlagOpen__FlagGems/triton_aot_kernels" "embedding_aot.py"
	.loc	1 8 0 prologue_end              ; embedding_aot.py:8:0
	s_load_dwordx2 s[2:3], s[0:1], 0x0
	s_load_dwordx8 s[4:11], s[0:1], 0x8
	s_waitcnt lgkmcnt(0)
	s_branch .LBB0_0
	.loc	1 0 0 is_stmt 0                 ; :0:0
.Ltmp0:
	.p2align	8
; %bb.2:
.LBB0_0:
.Ltmp1:
	.loc	1 19 24 is_stmt 1               ; embedding_aot.py:19:24
	v_readfirstlane_b32 s0, v0
	.loc	1 25 47                         ; embedding_aot.py:25:47
	s_and_b32 s8, s0, 0xc0
	.loc	1 16 21                         ; embedding_aot.py:16:21
	s_lshl_b32 s0, s12, 12
	.loc	1 16 15 is_stmt 0               ; embedding_aot.py:16:15
	s_ashr_i32 s1, s0, 31
	s_lshl_b64 s[0:1], s[0:1], 2
	s_add_u32 s0, s2, s0
	s_addc_u32 s1, s3, s1
	.loc	1 17 14 is_stmt 1               ; embedding_aot.py:17:14
	s_ashr_i32 s13, s12, 31
	s_lshl_b64 s[2:3], s[12:13], 3
	s_add_u32 s2, s4, s2
	s_addc_u32 s3, s5, s3
	.loc	1 22 22                         ; embedding_aot.py:22:22
	s_load_dwordx2 s[2:3], s[2:3], 0x0
	.loc	1 19 24                         ; embedding_aot.py:19:24
	v_and_or_b32 v0, v0, 63, s8
	.loc	1 24 50                         ; embedding_aot.py:24:50
	v_lshlrev_b32_e32 v0, 2, v0
	v_or_b32_e32 v2, 0x2000, v0
	v_or_b32_e32 v1, 0x1000, v0
	.loc	1 23 18                         ; embedding_aot.py:23:18
	s_waitcnt lgkmcnt(0)
	s_lshl_b64 s[2:3], s[2:3], 14
	s_add_u32 s4, s6, s2
	s_addc_u32 s2, s7, s3
	.loc	1 24 50                         ; embedding_aot.py:24:50
	s_and_b32 s5, s2, 0xffff
	s_mov_b32 s7, 0x27000
	s_mov_b32 s6, 0x7ffffffe
	buffer_load_dword v4, v0, s[4:7], 0 offen
	buffer_load_dword v5, v0, s[4:7], 0 offen offset:1024
	buffer_load_dword v6, v0, s[4:7], 0 offen offset:2048
	;; [unrolled: 1-line block ×3, first 2 shown]
	buffer_load_dword v8, v1, s[4:7], 0 offen
	buffer_load_dword v9, v1, s[4:7], 0 offen offset:1024
	buffer_load_dword v10, v1, s[4:7], 0 offen offset:2048
	;; [unrolled: 1-line block ×3, first 2 shown]
	v_or_b32_e32 v3, 0x3000, v0
	buffer_load_dword v12, v2, s[4:7], 0 offen
	buffer_load_dword v13, v2, s[4:7], 0 offen offset:1024
	buffer_load_dword v14, v2, s[4:7], 0 offen offset:2048
	;; [unrolled: 1-line block ×3, first 2 shown]
	buffer_load_dword v16, v3, s[4:7], 0 offen
	buffer_load_dword v17, v3, s[4:7], 0 offen offset:1024
	buffer_load_dword v18, v3, s[4:7], 0 offen offset:2048
	;; [unrolled: 1-line block ×3, first 2 shown]
	.loc	1 25 47                         ; embedding_aot.py:25:47
	s_mov_b32 s2, s6
	s_mov_b32 s3, s7
	s_and_b32 s1, s1, 0xffff
	s_waitcnt vmcnt(15)
	buffer_store_dword v4, v0, s[0:3], 0 offen
	s_waitcnt vmcnt(15)
	buffer_store_dword v5, v0, s[0:3], 0 offen offset:1024
	s_waitcnt vmcnt(15)
	buffer_store_dword v6, v0, s[0:3], 0 offen offset:2048
	s_waitcnt vmcnt(15)
	buffer_store_dword v7, v0, s[0:3], 0 offen offset:3072
	s_waitcnt vmcnt(15)
	buffer_store_dword v8, v1, s[0:3], 0 offen
	s_waitcnt vmcnt(15)
	buffer_store_dword v9, v1, s[0:3], 0 offen offset:1024
	s_waitcnt vmcnt(15)
	buffer_store_dword v10, v1, s[0:3], 0 offen offset:2048
	s_waitcnt vmcnt(15)
	buffer_store_dword v11, v1, s[0:3], 0 offen offset:3072
	;; [unrolled: 8-line block ×4, first 2 shown]
	.loc	1 25 4 is_stmt 0                ; embedding_aot.py:25:4
	s_endpgm
.Ltmp2:
	.section	.rodata,"a",@progbits
	.p2align	6, 0x0
	.amdhsa_kernel embedding_kernel
		.amdhsa_group_segment_fixed_size 0
		.amdhsa_private_segment_fixed_size 0
		.amdhsa_kernarg_size 40
		.amdhsa_user_sgpr_count 12
		.amdhsa_user_sgpr_dispatch_ptr 0
		.amdhsa_user_sgpr_queue_ptr 0
		.amdhsa_user_sgpr_kernarg_segment_ptr 1
		.amdhsa_user_sgpr_dispatch_id 0
		.amdhsa_user_sgpr_kernarg_preload_length 10
		.amdhsa_user_sgpr_kernarg_preload_offset 0
		.amdhsa_user_sgpr_private_segment_size 0
		.amdhsa_uses_dynamic_stack 0
		.amdhsa_enable_private_segment 0
		.amdhsa_system_sgpr_workgroup_id_x 1
		.amdhsa_system_sgpr_workgroup_id_y 0
		.amdhsa_system_sgpr_workgroup_id_z 0
		.amdhsa_system_sgpr_workgroup_info 0
		.amdhsa_system_vgpr_workitem_id 0
		.amdhsa_next_free_vgpr 20
		.amdhsa_next_free_sgpr 14
		.amdhsa_accum_offset 20
		.amdhsa_reserve_vcc 0
		.amdhsa_reserve_xnack_mask 1
		.amdhsa_float_round_mode_32 0
		.amdhsa_float_round_mode_16_64 0
		.amdhsa_float_denorm_mode_32 3
		.amdhsa_float_denorm_mode_16_64 3
		.amdhsa_dx10_clamp 1
		.amdhsa_ieee_mode 1
		.amdhsa_fp16_overflow 0
		.amdhsa_tg_split 0
		.amdhsa_exception_fp_ieee_invalid_op 0
		.amdhsa_exception_fp_denorm_src 0
		.amdhsa_exception_fp_ieee_div_zero 0
		.amdhsa_exception_fp_ieee_overflow 0
		.amdhsa_exception_fp_ieee_underflow 0
		.amdhsa_exception_fp_ieee_inexact 0
		.amdhsa_exception_int_div_zero 0
	.end_amdhsa_kernel
	.text
.Lfunc_end0:
	.size	embedding_kernel, .Lfunc_end0-embedding_kernel
	.cfi_endproc
                                        ; -- End function
	.set embedding_kernel.num_vgpr, 20
	.set embedding_kernel.num_agpr, 0
	.set embedding_kernel.numbered_sgpr, 14
	.set embedding_kernel.num_named_barrier, 0
	.set embedding_kernel.private_seg_size, 0
	.set embedding_kernel.uses_vcc, 0
	.set embedding_kernel.uses_flat_scratch, 0
	.set embedding_kernel.has_dyn_sized_stack, 0
	.set embedding_kernel.has_recursion, 0
	.set embedding_kernel.has_indirect_call, 0
	.section	.AMDGPU.csdata,"",@progbits
; Kernel info:
; codeLenInByte = 728
; TotalNumSgprs: 20
; NumVgprs: 20
; NumAgprs: 0
; TotalNumVgprs: 20
; ScratchSize: 0
; MemoryBound: 0
; FloatMode: 240
; IeeeMode: 1
; LDSByteSize: 0 bytes/workgroup (compile time only)
; SGPRBlocks: 2
; VGPRBlocks: 2
; NumSGPRsForWavesPerEU: 20
; NumVGPRsForWavesPerEU: 20
; AccumOffset: 20
; Occupancy: 8
; WaveLimiterHint : 0
; COMPUTE_PGM_RSRC2:SCRATCH_EN: 0
; COMPUTE_PGM_RSRC2:USER_SGPR: 12
; COMPUTE_PGM_RSRC2:TRAP_HANDLER: 0
; COMPUTE_PGM_RSRC2:TGID_X_EN: 1
; COMPUTE_PGM_RSRC2:TGID_Y_EN: 0
; COMPUTE_PGM_RSRC2:TGID_Z_EN: 0
; COMPUTE_PGM_RSRC2:TIDIG_COMP_CNT: 0
; COMPUTE_PGM_RSRC3_GFX90A:ACCUM_OFFSET: 4
; COMPUTE_PGM_RSRC3_GFX90A:TG_SPLIT: 0
	.text
	.p2alignl 6, 3212836864
	.fill 256, 4, 3212836864
	.section	.AMDGPU.gpr_maximums,"",@progbits
	.set amdgpu.max_num_vgpr, 0
	.set amdgpu.max_num_agpr, 0
	.set amdgpu.max_num_sgpr, 0
	.set amdgpu.max_num_named_barrier, 0
	.text
	.section	.debug_abbrev,"",@progbits
	.byte	1                               ; Abbreviation Code
	.byte	17                              ; DW_TAG_compile_unit
	.byte	0                               ; DW_CHILDREN_no
	.byte	37                              ; DW_AT_producer
	.byte	14                              ; DW_FORM_strp
	.byte	19                              ; DW_AT_language
	.byte	5                               ; DW_FORM_data2
	.byte	3                               ; DW_AT_name
	.byte	14                              ; DW_FORM_strp
	.byte	16                              ; DW_AT_stmt_list
	.byte	23                              ; DW_FORM_sec_offset
	.byte	27                              ; DW_AT_comp_dir
	.byte	14                              ; DW_FORM_strp
	.byte	17                              ; DW_AT_low_pc
	.byte	1                               ; DW_FORM_addr
	.byte	18                              ; DW_AT_high_pc
	.byte	6                               ; DW_FORM_data4
	.byte	0                               ; EOM(1)
	.byte	0                               ; EOM(2)
	;; [unrolled: 1-line block ×3, first 2 shown]
	.section	.debug_info,"",@progbits
.Lcu_begin0:
	.long	.Ldebug_info_end0-.Ldebug_info_start0 ; Length of Unit
.Ldebug_info_start0:
	.short	4                               ; DWARF version number
	.long	.debug_abbrev                   ; Offset Into Abbrev. Section
	.byte	8                               ; Address Size (in bytes)
	.byte	1                               ; Abbrev [1] 0xb:0x1f DW_TAG_compile_unit
	.long	.Linfo_string0                  ; DW_AT_producer
	.short	2                               ; DW_AT_language
	.long	.Linfo_string1                  ; DW_AT_name
	.long	.Lline_table_start0             ; DW_AT_stmt_list
	.long	.Linfo_string2                  ; DW_AT_comp_dir
	.quad	.Lfunc_begin0                   ; DW_AT_low_pc
	.long	.Lfunc_end0-.Lfunc_begin0       ; DW_AT_high_pc
.Ldebug_info_end0:
	.section	.debug_str,"MS",@progbits,1
.Linfo_string0:
	.asciz	"triton"                        ; string offset=0
.Linfo_string1:
	.asciz	"embedding_aot.py"              ; string offset=7
.Linfo_string2:
	.asciz	"/root/src/amdgpu-assembly/repos/FlagOpen__FlagGems/triton_aot_kernels" ; string offset=24
	.section	".note.GNU-stack","",@progbits
	.amdgpu_metadata
---
amdhsa.kernels:
  - .agpr_count:     0
    .args:
      - .address_space:  global
        .offset:         0
        .size:           8
        .value_kind:     global_buffer
      - .address_space:  global
        .offset:         8
        .size:           8
        .value_kind:     global_buffer
      - .address_space:  global
        .offset:         16
        .size:           8
        .value_kind:     global_buffer
      - .address_space:  global
        .offset:         24
        .size:           8
        .value_kind:     global_buffer
      - .address_space:  global
        .offset:         32
        .size:           8
        .value_kind:     global_buffer
    .group_segment_fixed_size: 0
    .kernarg_segment_align: 8
    .kernarg_segment_size: 40
    .max_flat_workgroup_size: 256
    .name:           embedding_kernel
    .private_segment_fixed_size: 0
    .sgpr_count:     20
    .sgpr_spill_count: 0
    .symbol:         embedding_kernel.kd
    .uniform_work_group_size: 1
    .uses_dynamic_stack: false
    .vgpr_count:     20
    .vgpr_spill_count: 0
    .wavefront_size: 64
amdhsa.target:   amdgcn-amd-amdhsa--gfx950
amdhsa.version:
  - 1
  - 2
...

	.end_amdgpu_metadata
	.section	.debug_line,"",@progbits
.Lline_table_start0:
